;; amdgpu-corpus repo=ROCm/rocFFT kind=compiled arch=gfx1030 opt=O3
	.text
	.amdgcn_target "amdgcn-amd-amdhsa--gfx1030"
	.amdhsa_code_object_version 6
	.protected	fft_rtc_fwd_len1183_factors_7_13_13_wgs_182_tpt_91_halfLds_half_op_CI_CI_sbrr_dirReg ; -- Begin function fft_rtc_fwd_len1183_factors_7_13_13_wgs_182_tpt_91_halfLds_half_op_CI_CI_sbrr_dirReg
	.globl	fft_rtc_fwd_len1183_factors_7_13_13_wgs_182_tpt_91_halfLds_half_op_CI_CI_sbrr_dirReg
	.p2align	8
	.type	fft_rtc_fwd_len1183_factors_7_13_13_wgs_182_tpt_91_halfLds_half_op_CI_CI_sbrr_dirReg,@function
fft_rtc_fwd_len1183_factors_7_13_13_wgs_182_tpt_91_halfLds_half_op_CI_CI_sbrr_dirReg: ; @fft_rtc_fwd_len1183_factors_7_13_13_wgs_182_tpt_91_halfLds_half_op_CI_CI_sbrr_dirReg
; %bb.0:
	s_clause 0x2
	s_load_dwordx4 s[16:19], s[4:5], 0x18
	s_load_dwordx4 s[12:15], s[4:5], 0x0
	;; [unrolled: 1-line block ×3, first 2 shown]
	v_mul_u32_u24_e32 v1, 0x2d1, v0
	v_mov_b32_e32 v7, 0
	v_mov_b32_e32 v5, 0
	;; [unrolled: 1-line block ×3, first 2 shown]
	s_waitcnt lgkmcnt(0)
	s_load_dwordx2 s[20:21], s[16:17], 0x0
	s_load_dwordx2 s[2:3], s[18:19], 0x0
	v_lshrrev_b32_e32 v11, 16, v1
	v_cmp_lt_u64_e64 s0, s[14:15], 2
	v_mov_b32_e32 v10, v7
	v_lshl_add_u32 v9, s6, 1, v11
	s_and_b32 vcc_lo, exec_lo, s0
	s_cbranch_vccnz .LBB0_8
; %bb.1:
	s_load_dwordx2 s[0:1], s[4:5], 0x10
	v_mov_b32_e32 v5, 0
	v_mov_b32_e32 v6, 0
	s_add_u32 s6, s18, 8
	s_addc_u32 s7, s19, 0
	v_mov_b32_e32 v1, v5
	s_add_u32 s22, s16, 8
	v_mov_b32_e32 v2, v6
	s_addc_u32 s23, s17, 0
	s_mov_b64 s[26:27], 1
	s_waitcnt lgkmcnt(0)
	s_add_u32 s24, s0, 8
	s_addc_u32 s25, s1, 0
.LBB0_2:                                ; =>This Inner Loop Header: Depth=1
	s_load_dwordx2 s[28:29], s[24:25], 0x0
                                        ; implicit-def: $vgpr3_vgpr4
	s_mov_b32 s0, exec_lo
	s_waitcnt lgkmcnt(0)
	v_or_b32_e32 v8, s29, v10
	v_cmpx_ne_u64_e32 0, v[7:8]
	s_xor_b32 s1, exec_lo, s0
	s_cbranch_execz .LBB0_4
; %bb.3:                                ;   in Loop: Header=BB0_2 Depth=1
	v_cvt_f32_u32_e32 v3, s28
	v_cvt_f32_u32_e32 v4, s29
	s_sub_u32 s0, 0, s28
	s_subb_u32 s30, 0, s29
	v_fmac_f32_e32 v3, 0x4f800000, v4
	v_rcp_f32_e32 v3, v3
	v_mul_f32_e32 v3, 0x5f7ffffc, v3
	v_mul_f32_e32 v4, 0x2f800000, v3
	v_trunc_f32_e32 v4, v4
	v_fmac_f32_e32 v3, 0xcf800000, v4
	v_cvt_u32_f32_e32 v4, v4
	v_cvt_u32_f32_e32 v3, v3
	v_mul_lo_u32 v8, s0, v4
	v_mul_hi_u32 v12, s0, v3
	v_mul_lo_u32 v13, s30, v3
	v_add_nc_u32_e32 v8, v12, v8
	v_mul_lo_u32 v12, s0, v3
	v_add_nc_u32_e32 v8, v8, v13
	v_mul_hi_u32 v13, v3, v12
	v_mul_lo_u32 v14, v3, v8
	v_mul_hi_u32 v15, v3, v8
	v_mul_hi_u32 v16, v4, v12
	v_mul_lo_u32 v12, v4, v12
	v_mul_hi_u32 v17, v4, v8
	v_mul_lo_u32 v8, v4, v8
	v_add_co_u32 v13, vcc_lo, v13, v14
	v_add_co_ci_u32_e32 v14, vcc_lo, 0, v15, vcc_lo
	v_add_co_u32 v12, vcc_lo, v13, v12
	v_add_co_ci_u32_e32 v12, vcc_lo, v14, v16, vcc_lo
	v_add_co_ci_u32_e32 v13, vcc_lo, 0, v17, vcc_lo
	v_add_co_u32 v8, vcc_lo, v12, v8
	v_add_co_ci_u32_e32 v12, vcc_lo, 0, v13, vcc_lo
	v_add_co_u32 v3, vcc_lo, v3, v8
	v_add_co_ci_u32_e32 v4, vcc_lo, v4, v12, vcc_lo
	v_mul_hi_u32 v8, s0, v3
	v_mul_lo_u32 v13, s30, v3
	v_mul_lo_u32 v12, s0, v4
	v_add_nc_u32_e32 v8, v8, v12
	v_mul_lo_u32 v12, s0, v3
	v_add_nc_u32_e32 v8, v8, v13
	v_mul_hi_u32 v13, v3, v12
	v_mul_lo_u32 v14, v3, v8
	v_mul_hi_u32 v15, v3, v8
	v_mul_hi_u32 v16, v4, v12
	v_mul_lo_u32 v12, v4, v12
	v_mul_hi_u32 v17, v4, v8
	v_mul_lo_u32 v8, v4, v8
	v_add_co_u32 v13, vcc_lo, v13, v14
	v_add_co_ci_u32_e32 v14, vcc_lo, 0, v15, vcc_lo
	v_add_co_u32 v12, vcc_lo, v13, v12
	v_add_co_ci_u32_e32 v12, vcc_lo, v14, v16, vcc_lo
	v_add_co_ci_u32_e32 v13, vcc_lo, 0, v17, vcc_lo
	v_add_co_u32 v8, vcc_lo, v12, v8
	v_add_co_ci_u32_e32 v12, vcc_lo, 0, v13, vcc_lo
	v_add_co_u32 v8, vcc_lo, v3, v8
	v_add_co_ci_u32_e32 v14, vcc_lo, v4, v12, vcc_lo
	v_mul_hi_u32 v16, v9, v8
	v_mad_u64_u32 v[12:13], null, v10, v8, 0
	v_mad_u64_u32 v[3:4], null, v9, v14, 0
	;; [unrolled: 1-line block ×3, first 2 shown]
	v_add_co_u32 v3, vcc_lo, v16, v3
	v_add_co_ci_u32_e32 v4, vcc_lo, 0, v4, vcc_lo
	v_add_co_u32 v3, vcc_lo, v3, v12
	v_add_co_ci_u32_e32 v3, vcc_lo, v4, v13, vcc_lo
	v_add_co_ci_u32_e32 v4, vcc_lo, 0, v15, vcc_lo
	v_add_co_u32 v8, vcc_lo, v3, v14
	v_add_co_ci_u32_e32 v12, vcc_lo, 0, v4, vcc_lo
	v_mul_lo_u32 v13, s29, v8
	v_mad_u64_u32 v[3:4], null, s28, v8, 0
	v_mul_lo_u32 v14, s28, v12
	v_sub_co_u32 v3, vcc_lo, v9, v3
	v_add3_u32 v4, v4, v14, v13
	v_sub_nc_u32_e32 v13, v10, v4
	v_subrev_co_ci_u32_e64 v13, s0, s29, v13, vcc_lo
	v_add_co_u32 v14, s0, v8, 2
	v_add_co_ci_u32_e64 v15, s0, 0, v12, s0
	v_sub_co_u32 v16, s0, v3, s28
	v_sub_co_ci_u32_e32 v4, vcc_lo, v10, v4, vcc_lo
	v_subrev_co_ci_u32_e64 v13, s0, 0, v13, s0
	v_cmp_le_u32_e32 vcc_lo, s28, v16
	v_cmp_eq_u32_e64 s0, s29, v4
	v_cndmask_b32_e64 v16, 0, -1, vcc_lo
	v_cmp_le_u32_e32 vcc_lo, s29, v13
	v_cndmask_b32_e64 v17, 0, -1, vcc_lo
	v_cmp_le_u32_e32 vcc_lo, s28, v3
	v_cndmask_b32_e64 v3, 0, -1, vcc_lo
	v_cmp_le_u32_e32 vcc_lo, s29, v4
	v_cndmask_b32_e64 v18, 0, -1, vcc_lo
	v_cmp_eq_u32_e32 vcc_lo, s29, v13
	v_cndmask_b32_e64 v3, v18, v3, s0
	v_cndmask_b32_e32 v13, v17, v16, vcc_lo
	v_add_co_u32 v16, vcc_lo, v8, 1
	v_add_co_ci_u32_e32 v17, vcc_lo, 0, v12, vcc_lo
	v_cmp_ne_u32_e32 vcc_lo, 0, v13
	v_cndmask_b32_e32 v4, v17, v15, vcc_lo
	v_cndmask_b32_e32 v13, v16, v14, vcc_lo
	v_cmp_ne_u32_e32 vcc_lo, 0, v3
	v_cndmask_b32_e32 v4, v12, v4, vcc_lo
	v_cndmask_b32_e32 v3, v8, v13, vcc_lo
.LBB0_4:                                ;   in Loop: Header=BB0_2 Depth=1
	s_andn2_saveexec_b32 s0, s1
	s_cbranch_execz .LBB0_6
; %bb.5:                                ;   in Loop: Header=BB0_2 Depth=1
	v_cvt_f32_u32_e32 v3, s28
	s_sub_i32 s1, 0, s28
	v_rcp_iflag_f32_e32 v3, v3
	v_mul_f32_e32 v3, 0x4f7ffffe, v3
	v_cvt_u32_f32_e32 v3, v3
	v_mul_lo_u32 v4, s1, v3
	v_mul_hi_u32 v4, v3, v4
	v_add_nc_u32_e32 v3, v3, v4
	v_mul_hi_u32 v3, v9, v3
	v_mul_lo_u32 v4, v3, s28
	v_add_nc_u32_e32 v8, 1, v3
	v_sub_nc_u32_e32 v4, v9, v4
	v_subrev_nc_u32_e32 v12, s28, v4
	v_cmp_le_u32_e32 vcc_lo, s28, v4
	v_cndmask_b32_e32 v4, v4, v12, vcc_lo
	v_cndmask_b32_e32 v3, v3, v8, vcc_lo
	v_cmp_le_u32_e32 vcc_lo, s28, v4
	v_add_nc_u32_e32 v8, 1, v3
	v_mov_b32_e32 v4, v7
	v_cndmask_b32_e32 v3, v3, v8, vcc_lo
.LBB0_6:                                ;   in Loop: Header=BB0_2 Depth=1
	s_or_b32 exec_lo, exec_lo, s0
	v_mul_lo_u32 v8, v4, s28
	v_mul_lo_u32 v14, v3, s29
	s_load_dwordx2 s[0:1], s[22:23], 0x0
	v_mad_u64_u32 v[12:13], null, v3, s28, 0
	s_load_dwordx2 s[28:29], s[6:7], 0x0
	s_add_u32 s26, s26, 1
	s_addc_u32 s27, s27, 0
	s_add_u32 s6, s6, 8
	s_addc_u32 s7, s7, 0
	s_add_u32 s22, s22, 8
	v_add3_u32 v8, v13, v14, v8
	v_sub_co_u32 v9, vcc_lo, v9, v12
	s_addc_u32 s23, s23, 0
	s_add_u32 s24, s24, 8
	v_sub_co_ci_u32_e32 v8, vcc_lo, v10, v8, vcc_lo
	s_addc_u32 s25, s25, 0
	s_waitcnt lgkmcnt(0)
	v_mul_lo_u32 v10, s0, v8
	v_mul_lo_u32 v12, s1, v9
	v_mad_u64_u32 v[5:6], null, s0, v9, v[5:6]
	v_mul_lo_u32 v8, s28, v8
	v_mul_lo_u32 v13, s29, v9
	v_mad_u64_u32 v[1:2], null, s28, v9, v[1:2]
	v_cmp_ge_u64_e64 s0, s[26:27], s[14:15]
	v_add3_u32 v6, v12, v6, v10
	v_add3_u32 v2, v13, v2, v8
	s_and_b32 vcc_lo, exec_lo, s0
	s_cbranch_vccnz .LBB0_9
; %bb.7:                                ;   in Loop: Header=BB0_2 Depth=1
	v_mov_b32_e32 v10, v4
	v_mov_b32_e32 v9, v3
	s_branch .LBB0_2
.LBB0_8:
	v_mov_b32_e32 v1, v5
	v_mov_b32_e32 v3, v9
	;; [unrolled: 1-line block ×4, first 2 shown]
.LBB0_9:
	s_load_dwordx2 s[0:1], s[4:5], 0x28
	v_mul_hi_u32 v33, 0x2d02d03, v0
	s_lshl_b64 s[6:7], s[14:15], 3
                                        ; implicit-def: $sgpr14
                                        ; implicit-def: $sgpr15
                                        ; implicit-def: $vgpr8
	s_add_u32 s4, s18, s6
	s_addc_u32 s5, s19, s7
	s_waitcnt lgkmcnt(0)
	v_cmp_gt_u64_e32 vcc_lo, s[0:1], v[3:4]
	v_cmp_le_u64_e64 s0, s[0:1], v[3:4]
	s_and_saveexec_b32 s1, s0
	s_xor_b32 s0, exec_lo, s1
; %bb.10:
	v_mul_u32_u24_e32 v5, 0x5b, v33
	s_mov_b32 s15, 0
	s_mov_b32 s14, 0
                                        ; implicit-def: $vgpr33
	v_sub_nc_u32_e32 v8, v0, v5
                                        ; implicit-def: $vgpr0
                                        ; implicit-def: $vgpr5_vgpr6
; %bb.11:
	s_or_saveexec_b32 s1, s0
	s_load_dwordx2 s[4:5], s[4:5], 0x0
	v_mov_b32_e32 v15, s15
	v_mov_b32_e32 v7, s14
	;; [unrolled: 1-line block ×9, first 2 shown]
                                        ; implicit-def: $vgpr20
                                        ; implicit-def: $vgpr18
                                        ; implicit-def: $vgpr22
                                        ; implicit-def: $vgpr9
                                        ; implicit-def: $vgpr24
                                        ; implicit-def: $vgpr10
                                        ; implicit-def: $vgpr25
                                        ; implicit-def: $vgpr12
                                        ; implicit-def: $vgpr28
                                        ; implicit-def: $vgpr13
                                        ; implicit-def: $vgpr30
                                        ; implicit-def: $vgpr14
                                        ; implicit-def: $vgpr32
                                        ; implicit-def: $vgpr16
                                        ; implicit-def: $vgpr39
                                        ; implicit-def: $vgpr36
                                        ; implicit-def: $vgpr38
                                        ; implicit-def: $vgpr35
                                        ; implicit-def: $vgpr37
                                        ; implicit-def: $vgpr31
	s_xor_b32 exec_lo, exec_lo, s1
	s_cbranch_execz .LBB0_15
; %bb.12:
	s_add_u32 s6, s16, s6
	s_addc_u32 s7, s17, s7
	v_mul_u32_u24_e32 v7, 0x5b, v33
	s_load_dwordx2 s[6:7], s[6:7], 0x0
	v_lshlrev_b64 v[5:6], 2, v[5:6]
	v_mov_b32_e32 v27, 0
	v_mov_b32_e32 v29, 0
	v_sub_nc_u32_e32 v8, v0, v7
                                        ; implicit-def: $vgpr31
                                        ; implicit-def: $vgpr37
                                        ; implicit-def: $vgpr35
                                        ; implicit-def: $vgpr38
                                        ; implicit-def: $vgpr36
                                        ; implicit-def: $vgpr39
	v_mad_u64_u32 v[9:10], null, s20, v8, 0
	v_add_nc_u32_e32 v21, 0xa9, v8
	v_add_nc_u32_e32 v24, 0x152, v8
	;; [unrolled: 1-line block ×4, first 2 shown]
	v_mad_u64_u32 v[12:13], null, s20, v21, 0
	v_mov_b32_e32 v0, v10
	v_mad_u64_u32 v[14:15], null, s20, v24, 0
	s_waitcnt lgkmcnt(0)
	v_mul_lo_u32 v10, s7, v3
	v_mul_lo_u32 v22, s6, v4
	v_mad_u64_u32 v[16:17], null, s6, v3, 0
	v_mad_u64_u32 v[18:19], null, s21, v8, v[0:1]
	v_mov_b32_e32 v0, v13
	v_mad_u64_u32 v[19:20], null, s20, v25, 0
	v_mov_b32_e32 v7, v15
	v_add3_u32 v17, v17, v22, v10
	v_mad_u64_u32 v[21:22], null, s21, v21, v[0:1]
	v_mad_u64_u32 v[22:23], null, s20, v26, 0
	v_lshlrev_b64 v[15:16], 2, v[16:17]
	v_mov_b32_e32 v10, v18
	v_mad_u64_u32 v[17:18], null, s21, v24, v[7:8]
	v_mov_b32_e32 v7, v20
	v_add_nc_u32_e32 v18, 0x34d, v8
	v_add_co_u32 v0, s0, s8, v15
	v_add_co_ci_u32_e64 v16, s0, s9, v16, s0
	v_mov_b32_e32 v15, v17
	v_add_co_u32 v0, s0, v0, v5
	v_add_co_ci_u32_e64 v5, s0, v16, v6, s0
	v_mad_u64_u32 v[6:7], null, s21, v25, v[7:8]
	v_mov_b32_e32 v7, v23
	v_mad_u64_u32 v[16:17], null, s20, v18, 0
	v_mov_b32_e32 v13, v21
	v_add_nc_u32_e32 v21, 0x3f6, v8
	v_mad_u64_u32 v[23:24], null, s21, v26, v[7:8]
	v_lshlrev_b64 v[9:10], 2, v[9:10]
	v_mov_b32_e32 v20, v6
	v_mad_u64_u32 v[24:25], null, s20, v21, 0
	v_mov_b32_e32 v7, v17
	v_lshlrev_b64 v[12:13], 2, v[12:13]
	v_add_co_u32 v9, s0, v0, v9
	v_lshlrev_b64 v[14:15], 2, v[14:15]
	v_mad_u64_u32 v[6:7], null, s21, v18, v[7:8]
	v_mov_b32_e32 v7, v25
	v_lshlrev_b64 v[18:19], 2, v[19:20]
	v_add_co_ci_u32_e64 v10, s0, v5, v10, s0
	v_add_co_u32 v12, s0, v0, v12
	v_mad_u64_u32 v[20:21], null, s21, v21, v[7:8]
	v_add_co_ci_u32_e64 v13, s0, v5, v13, s0
	v_add_co_u32 v14, s0, v0, v14
	v_lshlrev_b64 v[21:22], 2, v[22:23]
	v_mov_b32_e32 v17, v6
	v_add_co_ci_u32_e64 v15, s0, v5, v15, s0
	v_add_co_u32 v6, s0, v0, v18
	v_mov_b32_e32 v25, v20
	v_add_co_ci_u32_e64 v7, s0, v5, v19, s0
	v_lshlrev_b64 v[16:17], 2, v[16:17]
	v_add_co_u32 v19, s0, v0, v21
	v_add_co_ci_u32_e64 v20, s0, v5, v22, s0
	v_lshlrev_b64 v[21:22], 2, v[24:25]
	v_add_co_u32 v16, s0, v0, v16
	v_add_co_ci_u32_e64 v17, s0, v5, v17, s0
	v_mov_b32_e32 v26, 0
	v_add_co_u32 v21, s0, v0, v21
	v_add_co_ci_u32_e64 v22, s0, v5, v22, s0
	s_clause 0x6
	global_load_dword v18, v[9:10], off
	global_load_dword v9, v[12:13], off
	;; [unrolled: 1-line block ×7, first 2 shown]
	v_mov_b32_e32 v17, 0
	v_mov_b32_e32 v21, 0
	;; [unrolled: 1-line block ×5, first 2 shown]
	s_mov_b32 s6, exec_lo
	v_cmpx_gt_u32_e32 0x4e, v8
	s_cbranch_execz .LBB0_14
; %bb.13:
	v_add_nc_u32_e32 v28, 0x104, v8
	v_add_nc_u32_e32 v17, 0x5b, v8
	;; [unrolled: 1-line block ×5, first 2 shown]
	v_mad_u64_u32 v[19:20], null, s20, v28, 0
	v_mad_u64_u32 v[6:7], null, s20, v17, 0
	;; [unrolled: 1-line block ×4, first 2 shown]
	v_mov_b32_e32 v15, v20
	v_add_nc_u32_e32 v35, 0x3a8, v8
	v_mad_u64_u32 v[25:26], null, s21, v17, v[7:8]
	v_mov_b32_e32 v7, v22
	s_waitcnt vmcnt(0)
	v_mad_u64_u32 v[28:29], null, s21, v28, v[15:16]
	v_mad_u64_u32 v[26:27], null, s20, v32, 0
	;; [unrolled: 1-line block ×3, first 2 shown]
	v_mov_b32_e32 v7, v25
	v_mov_b32_e32 v15, v24
	;; [unrolled: 1-line block ×4, first 2 shown]
	v_lshlrev_b64 v[6:7], 2, v[6:7]
	v_mad_u64_u32 v[24:25], null, s21, v31, v[15:16]
	v_mov_b32_e32 v22, v29
	v_add_nc_u32_e32 v25, 0x451, v8
	v_mad_u64_u32 v[28:29], null, s20, v35, 0
	v_lshlrev_b64 v[19:20], 2, v[19:20]
	v_mad_u64_u32 v[30:31], null, s21, v32, v[17:18]
	v_add_co_u32 v6, s0, v0, v6
	v_mad_u64_u32 v[31:32], null, s20, v25, 0
	v_add_co_ci_u32_e64 v7, s0, v5, v7, s0
	v_add_co_u32 v33, s0, v0, v19
	v_mov_b32_e32 v15, v29
	v_add_co_ci_u32_e64 v34, s0, v5, v20, s0
	v_lshlrev_b64 v[19:20], 2, v[21:22]
	v_mov_b32_e32 v27, v30
	v_mad_u64_u32 v[21:22], null, s21, v35, v[15:16]
	v_mov_b32_e32 v15, v32
	v_add_co_u32 v35, s0, v0, v19
	v_add_co_ci_u32_e64 v36, s0, v5, v20, s0
	v_lshlrev_b64 v[19:20], 2, v[23:24]
	v_mad_u64_u32 v[22:23], null, s21, v25, v[15:16]
	v_mov_b32_e32 v29, v21
	v_lshlrev_b64 v[23:24], 2, v[26:27]
	v_add_co_u32 v25, s0, v0, v19
	v_add_co_ci_u32_e64 v26, s0, v5, v20, s0
	v_mov_b32_e32 v32, v22
	v_lshlrev_b64 v[19:20], 2, v[28:29]
	v_add_co_u32 v27, s0, v0, v23
	v_add_co_ci_u32_e64 v28, s0, v5, v24, s0
	v_lshlrev_b64 v[21:22], 2, v[31:32]
	v_add_co_u32 v29, s0, v0, v19
	v_add_co_ci_u32_e64 v30, s0, v5, v20, s0
	v_add_co_u32 v37, s0, v0, v21
	v_add_co_ci_u32_e64 v38, s0, v5, v22, s0
	s_clause 0x6
	global_load_dword v19, v[6:7], off
	global_load_dword v23, v[33:34], off
	;; [unrolled: 1-line block ×7, first 2 shown]
	s_waitcnt vmcnt(6)
	v_lshrrev_b32_e32 v15, 16, v19
	s_waitcnt vmcnt(5)
	v_lshrrev_b32_e32 v29, 16, v23
	;; [unrolled: 2-line block ×7, first 2 shown]
.LBB0_14:
	s_or_b32 exec_lo, exec_lo, s6
	s_waitcnt vmcnt(6)
	v_lshrrev_b32_e32 v20, 16, v18
	s_waitcnt vmcnt(5)
	v_lshrrev_b32_e32 v22, 16, v9
	;; [unrolled: 2-line block ×7, first 2 shown]
	v_mov_b32_e32 v7, v8
.LBB0_15:
	s_or_b32 exec_lo, exec_lo, s1
	v_add_f16_e32 v5, v9, v16
	v_add_f16_e32 v6, v10, v14
	v_and_b32_e32 v0, 1, v11
	v_sub_f16_e32 v11, v22, v32
	v_add_f16_e32 v33, v12, v13
	v_sub_f16_e32 v34, v24, v30
	v_sub_f16_e32 v40, v28, v25
	v_add_f16_e32 v41, v6, v5
	v_sub_f16_e32 v42, v6, v5
	v_sub_f16_e32 v5, v5, v33
	;; [unrolled: 1-line block ×3, first 2 shown]
	v_add_f16_e32 v43, v40, v34
	v_add_f16_e32 v33, v33, v41
	v_sub_f16_e32 v41, v40, v34
	v_sub_f16_e32 v34, v34, v11
	;; [unrolled: 1-line block ×3, first 2 shown]
	v_add_f16_e32 v11, v43, v11
	v_add_f16_e32 v18, v33, v18
	v_mul_f16_e32 v5, 0x3a52, v5
	v_mul_f16_e32 v43, 0x2b26, v6
	;; [unrolled: 1-line block ×4, first 2 shown]
	v_fmamk_f16 v33, v33, 0xbcab, v18
	v_fmamk_f16 v6, v6, 0x2b26, v5
	v_fma_f16 v43, v42, 0x39e0, -v43
	v_fma_f16 v5, v42, 0xb9e0, -v5
	;; [unrolled: 1-line block ×4, first 2 shown]
	v_fmamk_f16 v44, v40, 0x3574, v41
	v_add_f16_e32 v40, v43, v33
	v_add_f16_e32 v41, v5, v33
	v_fmac_f16_e32 v34, 0x370e, v11
	v_fmac_f16_e32 v42, 0x370e, v11
	v_cmp_eq_u32_e64 s0, 1, v0
	v_add_f16_e32 v6, v6, v33
	v_fmac_f16_e32 v44, 0x370e, v11
	v_add_f16_e32 v33, v34, v40
	v_add_f16_e32 v11, v42, v41
	v_cndmask_b32_e64 v0, 0, 0x49f, s0
	v_mad_u32_u24 v5, v8, 14, 0
	v_sub_f16_e32 v41, v41, v42
	v_sub_f16_e32 v34, v40, v34
	v_add_f16_e32 v45, v44, v6
	v_cmp_gt_u32_e64 s0, 0x4e, v8
	v_lshl_add_u32 v40, v0, 1, v5
	v_pack_b32_f16 v43, v33, v41
	v_pack_b32_f16 v42, v11, v34
	;; [unrolled: 1-line block ×3, first 2 shown]
	v_sub_f16_e32 v6, v6, v44
	ds_write_b96 v40, v[41:43]
	ds_write_b16 v40, v6 offset:12
	s_and_saveexec_b32 s1, s0
	s_cbranch_execz .LBB0_17
; %bb.16:
	v_add_f16_e32 v11, v21, v35
	v_add_f16_e32 v18, v23, v36
	;; [unrolled: 1-line block ×3, first 2 shown]
	v_sub_f16_e32 v33, v26, v37
	v_sub_f16_e32 v42, v27, v38
	;; [unrolled: 1-line block ×3, first 2 shown]
	v_add_f16_e32 v41, v18, v11
	v_sub_f16_e32 v34, v6, v11
	v_sub_f16_e32 v44, v18, v6
	;; [unrolled: 1-line block ×4, first 2 shown]
	v_add_f16_e32 v6, v41, v6
	v_sub_f16_e32 v41, v33, v42
	v_mul_f16_e32 v34, 0x2b26, v34
	v_mul_f16_e32 v46, 0x3a52, v44
	v_sub_f16_e32 v47, v43, v33
	v_add_f16_e32 v19, v19, v6
	v_add_f16_e32 v33, v42, v33
	v_mul_f16_e32 v18, 0x3b00, v45
	v_mul_f16_e32 v41, 0xb846, v41
	v_fmamk_f16 v44, v44, 0x3a52, v34
	v_fmamk_f16 v6, v6, 0xbcab, v19
	v_add_f16_e32 v33, v43, v33
	v_fma_f16 v42, v11, 0xb9e0, -v46
	v_fma_f16 v18, v47, 0xb574, -v18
	v_fma_f16 v43, v45, 0x3b00, -v41
	v_fma_f16 v11, v11, 0x39e0, -v34
	v_fmamk_f16 v34, v47, 0x3574, v41
	v_add_f16_e32 v41, v42, v6
	v_fmac_f16_e32 v18, 0x370e, v33
	v_fmac_f16_e32 v43, 0x370e, v33
	v_add_f16_e32 v11, v11, v6
	v_add_f16_e32 v6, v44, v6
	v_fmac_f16_e32 v34, 0x370e, v33
	v_sub_f16_e32 v33, v41, v18
	v_add_f16_e32 v18, v18, v41
	v_add_f16_e32 v42, v43, v11
	v_sub_f16_e32 v11, v11, v43
	v_add_f16_e32 v41, v34, v6
	v_sub_f16_e32 v6, v6, v34
	v_pack_b32_f16 v43, v42, v33
	v_pack_b32_f16 v42, v18, v11
	;; [unrolled: 1-line block ×3, first 2 shown]
	ds_write_b96 v40, v[41:43] offset:1274
	ds_write_b16 v40, v6 offset:1286
.LBB0_17:
	s_or_b32 exec_lo, exec_lo, s1
	v_add_f16_e32 v6, v22, v32
	v_add_f16_e32 v11, v24, v30
	v_sub_f16_e32 v9, v9, v16
	v_add_f16_e32 v16, v25, v28
	v_sub_f16_e32 v10, v10, v14
	v_sub_f16_e32 v12, v13, v12
	v_add_f16_e32 v13, v11, v6
	v_sub_f16_e32 v14, v11, v6
	v_sub_f16_e32 v6, v6, v16
	v_sub_f16_e32 v11, v16, v11
	v_add_f16_e32 v18, v12, v10
	v_add_f16_e32 v13, v16, v13
	v_sub_f16_e32 v16, v12, v10
	v_sub_f16_e32 v12, v9, v12
	;; [unrolled: 1-line block ×3, first 2 shown]
	v_add_f16_e32 v9, v18, v9
	v_add_f16_e32 v41, v13, v20
	v_mul_f16_e32 v6, 0x3a52, v6
	v_mul_f16_e32 v18, 0x2b26, v11
	;; [unrolled: 1-line block ×4, first 2 shown]
	v_fmamk_f16 v13, v13, 0xbcab, v41
	v_fmamk_f16 v42, v11, 0x2b26, v6
	v_fma_f16 v11, v14, 0x39e0, -v18
	v_fma_f16 v14, v14, 0xb9e0, -v6
	v_lshlrev_b32_e32 v6, 1, v0
	v_lshlrev_b32_e32 v0, 1, v8
	v_fmamk_f16 v43, v12, 0x3574, v16
	v_add_f16_e32 v44, v11, v13
	v_mul_i32_i24_e32 v11, -12, v8
	v_fma_f16 v10, v10, 0x3b00, -v16
	v_add3_u32 v0, 0, v6, v0
	v_fma_f16 v12, v12, 0xb574, -v19
	s_waitcnt lgkmcnt(0)
	v_add3_u32 v5, v5, v11, v6
	s_barrier
	buffer_gl0_inv
	ds_read_u16 v11, v0
	ds_read_u16 v34, v5 offset:182
	ds_read_u16 v32, v5 offset:364
	;; [unrolled: 1-line block ×12, first 2 shown]
	v_add_f16_e32 v14, v14, v13
	v_fmac_f16_e32 v10, 0x370e, v9
	v_fmac_f16_e32 v12, 0x370e, v9
	v_add_f16_e32 v42, v42, v13
	v_fmac_f16_e32 v43, 0x370e, v9
	s_waitcnt lgkmcnt(0)
	v_sub_f16_e32 v13, v44, v10
	v_sub_f16_e32 v9, v14, v12
	v_add_f16_e32 v12, v12, v14
	v_add_f16_e32 v10, v10, v44
	v_sub_f16_e32 v44, v42, v43
	s_barrier
	buffer_gl0_inv
	v_pack_b32_f16 v14, v13, v12
	v_pack_b32_f16 v13, v9, v10
	;; [unrolled: 1-line block ×3, first 2 shown]
	v_add_f16_e32 v9, v43, v42
	ds_write_b96 v40, v[12:14]
	ds_write_b16 v40, v9 offset:12
	s_and_saveexec_b32 s1, s0
	s_cbranch_execz .LBB0_19
; %bb.18:
	v_add_f16_e32 v9, v29, v39
	v_add_f16_e32 v10, v27, v38
	v_sub_f16_e32 v12, v23, v36
	v_add_f16_e32 v13, v26, v37
	v_sub_f16_e32 v14, v21, v35
	v_sub_f16_e32 v17, v17, v31
	v_add_f16_e32 v21, v9, v10
	v_sub_f16_e32 v23, v10, v9
	v_sub_f16_e32 v9, v9, v13
	;; [unrolled: 1-line block ×3, first 2 shown]
	v_add_f16_e32 v26, v14, v17
	v_add_f16_e32 v13, v21, v13
	v_sub_f16_e32 v21, v17, v14
	v_sub_f16_e32 v14, v14, v12
	;; [unrolled: 1-line block ×3, first 2 shown]
	v_add_f16_e32 v12, v12, v26
	v_add_f16_e32 v15, v15, v13
	v_mul_f16_e32 v10, 0x2b26, v10
	v_mul_f16_e32 v26, 0x3a52, v9
	;; [unrolled: 1-line block ×4, first 2 shown]
	v_fmamk_f16 v13, v13, 0xbcab, v15
	v_fmamk_f16 v9, v9, 0x3a52, v10
	v_fma_f16 v10, v23, 0x39e0, -v10
	v_fma_f16 v23, v23, 0xb9e0, -v26
	;; [unrolled: 1-line block ×4, first 2 shown]
	v_fmamk_f16 v17, v17, 0x3574, v21
	v_add_f16_e32 v10, v10, v13
	v_add_f16_e32 v21, v23, v13
	v_fmac_f16_e32 v26, 0x370e, v12
	v_fmac_f16_e32 v14, 0x370e, v12
	v_add_nc_u32_e32 v23, 0x5b, v8
	v_add_f16_e32 v9, v9, v13
	v_fmac_f16_e32 v17, 0x370e, v12
	v_sub_f16_e32 v12, v21, v26
	v_sub_f16_e32 v13, v10, v14
	v_mul_u32_u24_e32 v23, 14, v23
	v_add_f16_e32 v21, v21, v26
	v_add_f16_e32 v10, v10, v14
	v_sub_f16_e32 v26, v9, v17
	v_add_f16_e32 v9, v9, v17
	v_add3_u32 v23, 0, v23, v6
	v_pack_b32_f16 v14, v13, v21
	v_pack_b32_f16 v13, v12, v10
	;; [unrolled: 1-line block ×3, first 2 shown]
	ds_write_b96 v23, v[12:14]
	ds_write_b16 v23, v9 offset:12
.LBB0_19:
	s_or_b32 exec_lo, exec_lo, s1
	v_and_b32_e32 v9, 0xff, v8
	v_mov_b32_e32 v12, 12
	s_waitcnt lgkmcnt(0)
	s_barrier
	buffer_gl0_inv
	v_mul_lo_u16 v9, v9, 37
	v_lshrrev_b16 v9, 8, v9
	v_sub_nc_u16 v10, v8, v9
	v_lshrrev_b16 v10, 1, v10
	v_and_b32_e32 v10, 0x7f, v10
	v_add_nc_u16 v9, v10, v9
	v_lshrrev_b16 v10, 2, v9
	v_mul_lo_u16 v9, v10, 7
	v_and_b32_e32 v10, 0xffff, v10
	v_sub_nc_u16 v9, v8, v9
	v_mad_u32_u24 v10, 0xb6, v10, 0
	v_mul_u32_u24_sdwa v12, v9, v12 dst_sel:DWORD dst_unused:UNUSED_PAD src0_sel:BYTE_0 src1_sel:DWORD
	v_lshlrev_b32_e32 v12, 2, v12
	s_clause 0x2
	global_load_dwordx4 v[35:38], v12, s[12:13]
	global_load_dwordx4 v[41:44], v12, s[12:13] offset:16
	global_load_dwordx4 v[45:48], v12, s[12:13] offset:32
	ds_read_u16 v40, v5 offset:182
	ds_read_u16 v49, v5 offset:364
	;; [unrolled: 1-line block ×12, first 2 shown]
	ds_read_u16 v26, v0
	s_waitcnt vmcnt(0) lgkmcnt(0)
	s_barrier
	buffer_gl0_inv
	v_mul_f16_sdwa v61, v34, v35 dst_sel:DWORD dst_unused:UNUSED_PAD src0_sel:DWORD src1_sel:WORD_1
	v_mul_f16_sdwa v62, v49, v36 dst_sel:DWORD dst_unused:UNUSED_PAD src0_sel:DWORD src1_sel:WORD_1
	;; [unrolled: 1-line block ×11, first 2 shown]
	v_fmac_f16_e32 v61, v40, v35
	v_mul_f16_sdwa v60, v40, v35 dst_sel:DWORD dst_unused:UNUSED_PAD src0_sel:DWORD src1_sel:WORD_1
	v_mul_f16_sdwa v31, v30, v37 dst_sel:DWORD dst_unused:UNUSED_PAD src0_sel:DWORD src1_sel:WORD_1
	;; [unrolled: 1-line block ×10, first 2 shown]
	v_fma_f16 v40, v32, v36, -v62
	v_fmac_f16_e32 v39, v49, v36
	v_fma_f16 v32, v30, v37, -v63
	v_fma_f16 v30, v28, v38, -v64
	;; [unrolled: 1-line block ×6, first 2 shown]
	v_fmac_f16_e32 v17, v55, v44
	v_fmac_f16_e32 v13, v58, v47
	v_add_f16_e32 v44, v26, v61
	v_mul_f16_sdwa v15, v19, v45 dst_sel:DWORD dst_unused:UNUSED_PAD src0_sel:DWORD src1_sel:WORD_1
	v_mul_f16_sdwa v71, v58, v47 dst_sel:DWORD dst_unused:UNUSED_PAD src0_sel:DWORD src1_sel:WORD_1
	v_mul_f16_sdwa v12, v33, v48 dst_sel:DWORD dst_unused:UNUSED_PAD src0_sel:DWORD src1_sel:WORD_1
	v_fma_f16 v60, v34, v35, -v60
	v_fmac_f16_e32 v31, v50, v37
	v_fmac_f16_e32 v23, v53, v42
	v_fma_f16 v20, v19, v45, -v69
	v_fma_f16 v19, v16, v46, -v70
	;; [unrolled: 1-line block ×3, first 2 shown]
	v_fmac_f16_e32 v14, v57, v46
	v_sub_f16_e32 v42, v39, v13
	v_add_f16_e32 v33, v39, v13
	v_add_f16_e32 v39, v44, v39
	v_fmac_f16_e32 v29, v51, v38
	v_fmac_f16_e32 v21, v54, v43
	;; [unrolled: 1-line block ×4, first 2 shown]
	v_fma_f16 v18, v18, v47, -v71
	v_add_f16_e32 v43, v11, v60
	v_sub_f16_e32 v48, v31, v14
	v_add_f16_e32 v38, v31, v14
	v_add_f16_e32 v31, v39, v31
	v_fmac_f16_e32 v27, v52, v41
	v_add_f16_e32 v34, v40, v18
	v_sub_f16_e32 v41, v40, v18
	v_sub_f16_e32 v51, v29, v15
	v_add_f16_e32 v49, v29, v15
	v_add_f16_e32 v40, v43, v40
	;; [unrolled: 1-line block ×3, first 2 shown]
	v_sub_f16_e32 v46, v61, v12
	v_sub_f16_e32 v45, v60, v16
	v_add_f16_e32 v37, v32, v19
	v_sub_f16_e32 v50, v32, v19
	v_sub_f16_e32 v53, v27, v17
	v_add_f16_e32 v56, v27, v17
	v_add_f16_e32 v32, v40, v32
	;; [unrolled: 1-line block ×6, first 2 shown]
	v_sub_f16_e32 v52, v30, v20
	v_sub_f16_e32 v58, v23, v21
	v_add_f16_e32 v60, v23, v21
	v_mul_f16_e32 v61, 0xb770, v46
	v_mul_f16_e32 v62, 0xb770, v45
	v_mul_f16_e32 v63, 0xba95, v46
	v_mul_f16_e32 v64, 0xba95, v45
	v_mul_f16_e32 v65, 0xbbf1, v46
	v_mul_f16_e32 v66, 0xbbf1, v45
	v_mul_f16_e32 v67, 0xbb7b, v46
	v_mul_f16_e32 v68, 0xbb7b, v45
	v_mul_f16_e32 v69, 0xb94e, v46
	v_mul_f16_e32 v70, 0xb94e, v45
	v_mul_f16_e32 v46, 0xb3a8, v46
	v_mul_f16_e32 v45, 0xb3a8, v45
	v_add_f16_e32 v30, v32, v30
	v_add_f16_e32 v23, v27, v23
	;; [unrolled: 1-line block ×3, first 2 shown]
	v_sub_f16_e32 v55, v28, v22
	v_mul_f16_e32 v71, 0xba95, v42
	v_mul_f16_e32 v72, 0xbb7b, v42
	;; [unrolled: 1-line block ×12, first 2 shown]
	v_fma_f16 v112, v36, 0x3b15, -v61
	v_fmamk_f16 v113, v35, 0x3b15, v62
	v_fmac_f16_e32 v61, 0x3b15, v36
	v_fma_f16 v62, v35, 0x3b15, -v62
	v_fma_f16 v114, v36, 0x388b, -v63
	v_fmac_f16_e32 v63, 0x388b, v36
	v_fma_f16 v116, v36, 0x2fb7, -v65
	v_fmac_f16_e32 v65, 0x2fb7, v36
	;; [unrolled: 2-line block ×5, first 2 shown]
	v_fmamk_f16 v36, v35, 0xbbc4, v45
	v_add_f16_e32 v28, v30, v28
	v_add_f16_e32 v21, v23, v21
	;; [unrolled: 1-line block ×3, first 2 shown]
	v_sub_f16_e32 v59, v25, v24
	v_mul_f16_e32 v79, 0xbbf1, v48
	v_mul_f16_e32 v80, 0xb3a8, v48
	;; [unrolled: 1-line block ×12, first 2 shown]
	v_fmamk_f16 v115, v35, 0x388b, v64
	v_fma_f16 v64, v35, 0x388b, -v64
	v_fmamk_f16 v117, v35, 0x2fb7, v66
	v_fma_f16 v66, v35, 0x2fb7, -v66
	;; [unrolled: 2-line block ×4, first 2 shown]
	v_fma_f16 v35, v35, 0xbbc4, -v45
	v_fma_f16 v45, v34, 0x388b, -v71
	v_fmac_f16_e32 v71, 0x388b, v34
	v_fma_f16 v123, v34, 0xb5ac, -v72
	v_fmac_f16_e32 v72, 0xb5ac, v34
	;; [unrolled: 2-line block ×6, first 2 shown]
	v_fmamk_f16 v34, v33, 0x388b, v43
	v_fma_f16 v43, v33, 0x388b, -v43
	v_fmamk_f16 v132, v33, 0x3b15, v41
	v_add_f16_e32 v112, v11, v112
	v_add_f16_e32 v61, v11, v61
	;; [unrolled: 1-line block ×7, first 2 shown]
	v_mul_f16_e32 v89, 0xbb7b, v51
	v_mul_f16_e32 v90, 0x394e, v51
	;; [unrolled: 1-line block ×12, first 2 shown]
	v_fmamk_f16 v128, v33, 0xb5ac, v44
	v_fma_f16 v44, v33, 0xb5ac, -v44
	v_fmamk_f16 v129, v33, 0xbbc4, v76
	v_fma_f16 v76, v33, 0xbbc4, -v76
	;; [unrolled: 2-line block ×4, first 2 shown]
	v_fma_f16 v33, v33, 0x3b15, -v41
	v_fma_f16 v41, v37, 0x2fb7, -v79
	v_fmac_f16_e32 v79, 0x2fb7, v37
	v_fma_f16 v133, v37, 0xbbc4, -v80
	v_fmac_f16_e32 v80, 0xbbc4, v37
	;; [unrolled: 2-line block ×6, first 2 shown]
	v_fmamk_f16 v37, v38, 0x2fb7, v84
	v_fma_f16 v39, v38, 0x2fb7, -v84
	v_fmamk_f16 v140, v38, 0xb9fd, v50
	v_add_f16_e32 v114, v11, v114
	v_add_f16_e32 v63, v11, v63
	;; [unrolled: 1-line block ×20, first 2 shown]
	v_mul_f16_e32 v99, 0xb94e, v53
	v_mul_f16_e32 v100, 0x3bf1, v53
	;; [unrolled: 1-line block ×12, first 2 shown]
	v_fmamk_f16 v40, v38, 0xbbc4, v85
	v_fma_f16 v84, v38, 0xbbc4, -v85
	v_fmamk_f16 v85, v38, 0xb5ac, v86
	v_fma_f16 v86, v38, 0xb5ac, -v86
	;; [unrolled: 2-line block ×4, first 2 shown]
	v_fma_f16 v38, v38, 0xb9fd, -v50
	v_fma_f16 v50, v47, 0xb5ac, -v89
	v_fmac_f16_e32 v89, 0xb5ac, v47
	v_fma_f16 v141, v47, 0xb9fd, -v90
	v_fmac_f16_e32 v90, 0xb9fd, v47
	;; [unrolled: 2-line block ×6, first 2 shown]
	v_fmamk_f16 v47, v49, 0xb5ac, v94
	v_fma_f16 v94, v49, 0xb5ac, -v94
	v_fmamk_f16 v150, v49, 0x388b, v52
	v_add_f16_e32 v118, v11, v118
	v_add_f16_e32 v67, v11, v67
	;; [unrolled: 1-line block ×22, first 2 shown]
	v_mul_f16_e32 v109, 0xb3a8, v58
	v_mul_f16_e32 v110, 0xb3a8, v59
	v_fmamk_f16 v146, v49, 0xb9fd, v95
	v_fma_f16 v95, v49, 0xb9fd, -v95
	v_fmamk_f16 v147, v49, 0x3b15, v96
	v_fma_f16 v96, v49, 0x3b15, -v96
	;; [unrolled: 2-line block ×4, first 2 shown]
	v_fma_f16 v49, v49, 0x388b, -v52
	v_fma_f16 v52, v54, 0xb9fd, -v99
	v_fmac_f16_e32 v99, 0xb9fd, v54
	v_fma_f16 v151, v54, 0x2fb7, -v100
	v_fmac_f16_e32 v100, 0x2fb7, v54
	;; [unrolled: 2-line block ×6, first 2 shown]
	v_fmamk_f16 v54, v56, 0xb9fd, v104
	v_fma_f16 v104, v56, 0xb9fd, -v104
	v_fmamk_f16 v160, v56, 0xb5ac, v55
	v_add_f16_e32 v73, v130, v119
	v_add_f16_e32 v11, v42, v11
	;; [unrolled: 1-line block ×18, first 2 shown]
	v_mul_f16_e32 v111, 0x3770, v58
	v_fmamk_f16 v156, v56, 0x2fb7, v105
	v_fma_f16 v105, v56, 0x2fb7, -v105
	v_fmamk_f16 v157, v56, 0x388b, v106
	v_fma_f16 v106, v56, 0x388b, -v106
	v_fma_f16 v55, v56, 0xb5ac, -v55
	v_mul_f16_e32 v32, 0xb94e, v58
	v_fma_f16 v31, v57, 0xbbc4, -v109
	v_fmamk_f16 v46, v60, 0xbbc4, v110
	v_fmac_f16_e32 v109, 0xbbc4, v57
	v_fma_f16 v110, v60, 0xbbc4, -v110
	v_add_f16_e32 v72, v125, v118
	v_add_f16_e32 v67, v74, v67
	;; [unrolled: 1-line block ×21, first 2 shown]
	v_mul_f16_e32 v13, 0xb94e, v59
	v_fmamk_f16 v158, v56, 0xbbc4, v107
	v_fma_f16 v107, v56, 0xbbc4, -v107
	v_fmamk_f16 v159, v56, 0x3b15, v108
	v_fma_f16 v108, v56, 0x3b15, -v108
	v_mul_f16_e32 v56, 0x3770, v59
	v_fma_f16 v35, v57, 0x3b15, -v111
	v_fmac_f16_e32 v111, 0x3b15, v57
	v_add_f16_e32 v76, v131, v121
	v_add_f16_e32 v69, v75, v69
	;; [unrolled: 1-line block ×21, first 2 shown]
	v_fma_f16 v12, v57, 0xb9fd, -v32
	v_fmamk_f16 v23, v60, 0xb9fd, v13
	v_fmac_f16_e32 v32, 0xb9fd, v57
	v_fma_f16 v13, v60, 0xb9fd, -v13
	v_mul_f16_e32 v25, 0x3a95, v59
	v_fmamk_f16 v30, v60, 0x3b15, v56
	v_fma_f16 v56, v60, 0x3b15, -v56
	v_add_f16_e32 v67, v139, v76
	v_add_f16_e32 v68, v83, v69
	;; [unrolled: 1-line block ×14, first 2 shown]
	v_fmamk_f16 v13, v60, 0x388b, v25
	v_mul_f16_e32 v33, 0xbb7b, v58
	v_add_f16_e32 v11, v48, v11
	v_add_f16_e32 v48, v149, v67
	;; [unrolled: 1-line block ×10, first 2 shown]
	v_mul_f16_e32 v34, 0xbb7b, v59
	v_add_f16_e32 v35, v13, v41
	v_fma_f16 v13, v60, 0x388b, -v25
	v_fma_f16 v25, v57, 0xb5ac, -v33
	v_add_f16_e32 v75, v127, v122
	v_add_f16_e32 v45, v159, v48
	;; [unrolled: 1-line block ×4, first 2 shown]
	v_mul_f16_e32 v21, 0x3a95, v58
	v_fmamk_f16 v36, v60, 0xb5ac, v34
	v_add_f16_e32 v37, v13, v43
	v_add_f16_e32 v13, v25, v44
	v_fma_f16 v25, v60, 0xb5ac, -v34
	v_add_f16_e32 v70, v137, v75
	v_add_f16_e32 v11, v51, v11
	v_fma_f16 v30, v57, 0x388b, -v21
	v_add_f16_e32 v34, v36, v45
	v_mul_f16_e32 v36, 0x3bf1, v58
	v_add_f16_e32 v39, v25, v48
	v_mov_b32_e32 v25, 1
	v_add_f16_e32 v50, v93, v68
	v_add_f16_e32 v62, v145, v70
	;; [unrolled: 1-line block ×4, first 2 shown]
	v_mul_f16_e32 v38, 0x3bf1, v59
	v_fma_f16 v40, v57, 0x2fb7, -v36
	v_fmac_f16_e32 v36, 0x2fb7, v57
	v_lshlrev_b32_sdwa v9, v25, v9 dst_sel:DWORD dst_unused:UNUSED_PAD src0_sel:DWORD src1_sel:BYTE_0
	v_fmac_f16_e32 v21, 0x388b, v57
	v_add_f16_e32 v47, v103, v50
	v_add_f16_e32 v17, v155, v62
	v_fmac_f16_e32 v33, 0xb5ac, v57
	v_fma_f16 v25, v60, 0x2fb7, -v38
	v_add_f16_e32 v11, v36, v11
	v_add3_u32 v36, v10, v9, v6
	v_add_f16_e32 v21, v21, v42
	v_add_f16_e32 v33, v33, v47
	v_fmamk_f16 v41, v60, 0x2fb7, v38
	v_add_f16_e32 v17, v40, v17
	v_add_f16_e32 v38, v25, v15
	ds_write_b16 v36, v16
	ds_write_b16 v36, v20 offset:14
	ds_write_b16 v36, v19 offset:28
	;; [unrolled: 1-line block ×12, first 2 shown]
	s_waitcnt lgkmcnt(0)
	s_barrier
	buffer_gl0_inv
	ds_read_u16 v6, v0
	ds_read_u16 v20, v5 offset:182
	ds_read_u16 v19, v5 offset:364
	ds_read_u16 v16, v5 offset:546
	ds_read_u16 v15, v5 offset:728
	ds_read_u16 v12, v5 offset:910
	ds_read_u16 v9, v5 offset:1092
	ds_read_u16 v10, v5 offset:1274
	ds_read_u16 v13, v5 offset:1456
	ds_read_u16 v18, v5 offset:1638
	ds_read_u16 v21, v5 offset:1820
	ds_read_u16 v25, v5 offset:2002
	ds_read_u16 v23, v5 offset:2184
	v_add_f16_e32 v22, v41, v22
	s_waitcnt lgkmcnt(0)
	s_barrier
	buffer_gl0_inv
	ds_write_b16 v36, v27
	ds_write_b16 v36, v26 offset:14
	ds_write_b16 v36, v28 offset:28
	;; [unrolled: 1-line block ×12, first 2 shown]
	s_waitcnt lgkmcnt(0)
	s_barrier
	buffer_gl0_inv
	s_and_saveexec_b32 s0, vcc_lo
	s_cbranch_execz .LBB0_21
; %bb.20:
	v_mul_u32_u24_e32 v8, 12, v8
	v_mul_lo_u32 v11, s5, v3
	v_mul_lo_u32 v14, s4, v4
	v_mad_u64_u32 v[3:4], null, s4, v3, 0
	v_lshlrev_b32_e32 v8, 2, v8
	s_clause 0x2
	global_load_dwordx4 v[33:36], v8, s[12:13] offset:368
	global_load_dwordx4 v[39:42], v8, s[12:13] offset:336
	global_load_dwordx4 v[43:46], v8, s[12:13] offset:352
	ds_read_u16 v8, v5 offset:182
	ds_read_u16 v27, v5 offset:2184
	;; [unrolled: 1-line block ×11, first 2 shown]
	ds_read_u16 v0, v0
	ds_read_u16 v5, v5 offset:1456
	v_add3_u32 v4, v4, v14, v11
	v_lshlrev_b64 v[3:4], 2, v[3:4]
	s_waitcnt vmcnt(2)
	v_mul_f16_sdwa v11, v23, v36 dst_sel:DWORD dst_unused:UNUSED_PAD src0_sel:DWORD src1_sel:WORD_1
	s_waitcnt vmcnt(1)
	v_mul_f16_sdwa v54, v20, v39 dst_sel:DWORD dst_unused:UNUSED_PAD src0_sel:DWORD src1_sel:WORD_1
	v_mul_f16_sdwa v14, v25, v35 dst_sel:DWORD dst_unused:UNUSED_PAD src0_sel:DWORD src1_sel:WORD_1
	;; [unrolled: 1-line block ×4, first 2 shown]
	s_waitcnt lgkmcnt(7)
	v_mul_f16_sdwa v60, v48, v34 dst_sel:DWORD dst_unused:UNUSED_PAD src0_sel:DWORD src1_sel:WORD_1
	v_fmac_f16_e32 v11, v27, v36
	v_fmac_f16_e32 v54, v8, v39
	v_mul_f16_sdwa v55, v8, v39 dst_sel:DWORD dst_unused:UNUSED_PAD src0_sel:DWORD src1_sel:WORD_1
	v_mul_f16_sdwa v56, v27, v36 dst_sel:DWORD dst_unused:UNUSED_PAD src0_sel:DWORD src1_sel:WORD_1
	;; [unrolled: 1-line block ×3, first 2 shown]
	v_fmac_f16_e32 v14, v38, v35
	v_fmac_f16_e32 v32, v37, v40
	;; [unrolled: 1-line block ×3, first 2 shown]
	v_fma_f16 v27, v21, v34, -v60
	v_add_f16_e32 v21, v11, v54
	v_sub_f16_e32 v48, v54, v11
	s_waitcnt lgkmcnt(1)
	v_add_f16_e32 v54, v0, v54
	v_mul_f16_sdwa v59, v47, v41 dst_sel:DWORD dst_unused:UNUSED_PAD src0_sel:DWORD src1_sel:WORD_1
	v_mul_f16_sdwa v22, v18, v33 dst_sel:DWORD dst_unused:UNUSED_PAD src0_sel:DWORD src1_sel:WORD_1
	;; [unrolled: 1-line block ×4, first 2 shown]
	s_waitcnt vmcnt(0)
	v_mul_f16_sdwa v24, v13, v46 dst_sel:DWORD dst_unused:UNUSED_PAD src0_sel:DWORD src1_sel:WORD_1
	s_waitcnt lgkmcnt(0)
	v_mul_f16_sdwa v64, v5, v46 dst_sel:DWORD dst_unused:UNUSED_PAD src0_sel:DWORD src1_sel:WORD_1
	v_fma_f16 v55, v20, v39, -v55
	v_fmac_f16_e32 v31, v47, v41
	v_add_f16_e32 v20, v14, v32
	v_sub_f16_e32 v47, v32, v14
	v_add_f16_e32 v32, v54, v32
	v_mul_f16_sdwa v58, v38, v35 dst_sel:DWORD dst_unused:UNUSED_PAD src0_sel:DWORD src1_sel:WORD_1
	v_mul_f16_sdwa v29, v12, v43 dst_sel:DWORD dst_unused:UNUSED_PAD src0_sel:DWORD src1_sel:WORD_1
	;; [unrolled: 1-line block ×4, first 2 shown]
	v_fmac_f16_e32 v22, v49, v33
	v_fmac_f16_e32 v30, v50, v42
	v_fma_f16 v33, v18, v33, -v62
	v_fmac_f16_e32 v24, v5, v46
	v_fma_f16 v34, v13, v46, -v64
	v_add_f16_e32 v18, v17, v31
	v_sub_f16_e32 v46, v31, v17
	v_add_f16_e32 v31, v32, v31
	v_mul_f16_sdwa v28, v9, v44 dst_sel:DWORD dst_unused:UNUSED_PAD src0_sel:DWORD src1_sel:WORD_1
	v_mul_f16_sdwa v65, v53, v44 dst_sel:DWORD dst_unused:UNUSED_PAD src0_sel:DWORD src1_sel:WORD_1
	v_fma_f16 v25, v25, v35, -v58
	v_fmac_f16_e32 v29, v51, v43
	v_fmac_f16_e32 v26, v52, v45
	v_fma_f16 v35, v10, v45, -v66
	v_add_f16_e32 v13, v22, v30
	v_sub_f16_e32 v45, v30, v22
	v_add_f16_e32 v30, v31, v30
	v_mul_f16_sdwa v63, v51, v43 dst_sel:DWORD dst_unused:UNUSED_PAD src0_sel:DWORD src1_sel:WORD_1
	v_fma_f16 v23, v23, v36, -v56
	v_fmac_f16_e32 v28, v53, v44
	v_fma_f16 v36, v9, v44, -v65
	v_add_f16_e32 v9, v24, v29
	v_sub_f16_e32 v44, v29, v24
	v_add_f16_e32 v29, v30, v29
	v_mul_f16_sdwa v57, v37, v40 dst_sel:DWORD dst_unused:UNUSED_PAD src0_sel:DWORD src1_sel:WORD_1
	v_fma_f16 v37, v12, v43, -v63
	v_add_f16_e32 v5, v26, v28
	v_sub_f16_e32 v43, v28, v26
	v_add_f16_e32 v28, v29, v28
	v_fma_f16 v40, v19, v40, -v57
	v_sub_f16_e32 v49, v55, v23
	v_mul_f16_sdwa v61, v50, v42 dst_sel:DWORD dst_unused:UNUSED_PAD src0_sel:DWORD src1_sel:WORD_1
	v_fma_f16 v39, v16, v41, -v59
	v_add_f16_e32 v26, v26, v28
	v_sub_f16_e32 v50, v40, v25
	v_mul_f16_e32 v103, 0xbbf1, v49
	v_add_f16_e32 v19, v23, v55
	v_add_f16_e32 v53, v6, v55
	;; [unrolled: 1-line block ×3, first 2 shown]
	v_mul_f16_e32 v55, 0x388b, v21
	v_fma_f16 v38, v15, v42, -v61
	v_sub_f16_e32 v51, v39, v27
	v_mul_f16_e32 v104, 0xb3a8, v50
	v_add_f16_e32 v22, v22, v24
	v_fma_f16 v24, v21, 0x2fb7, -v103
	v_mul_f16_e32 v56, 0xb5ac, v20
	v_fmamk_f16 v119, v49, 0x3a95, v55
	v_fmac_f16_e32 v55, 0xba95, v49
	v_sub_f16_e32 v52, v38, v33
	v_mul_f16_e32 v105, 0x3b7b, v51
	v_mul_f16_e32 v109, 0xbbf1, v48
	v_add_f16_e32 v17, v17, v22
	v_add_f16_e32 v22, v0, v24
	v_fma_f16 v24, v20, 0xbbc4, -v104
	v_mul_f16_e32 v57, 0xbbc4, v18
	v_fmamk_f16 v120, v50, 0x3b7b, v56
	v_fmac_f16_e32 v56, 0xbb7b, v50
	v_add_f16_e32 v55, v0, v55
	v_sub_f16_e32 v42, v37, v34
	v_add_f16_e32 v16, v25, v40
	v_mul_f16_e32 v67, 0xb5ac, v21
	v_mul_f16_e32 v79, 0xb9fd, v21
	;; [unrolled: 1-line block ×6, first 2 shown]
	v_fma_f16 v168, v19, 0x2fb7, -v109
	v_add_f16_e32 v40, v53, v40
	v_add_f16_e32 v14, v14, v17
	;; [unrolled: 1-line block ×3, first 2 shown]
	v_fma_f16 v22, v18, 0xb5ac, -v105
	v_fmac_f16_e32 v109, 0x2fb7, v19
	v_mul_f16_e32 v58, 0xb9fd, v13
	v_mul_f16_e32 v61, 0xba95, v48
	v_fmamk_f16 v121, v51, 0x33a8, v57
	v_fmac_f16_e32 v57, 0xb3a8, v51
	v_add_f16_e32 v55, v55, v56
	v_add_f16_e32 v15, v27, v39
	v_mul_f16_e32 v73, 0xbb7b, v48
	v_mul_f16_e32 v85, 0xb94e, v48
	v_mul_f16_e32 v97, 0xb3a8, v48
	v_mul_f16_e32 v107, 0xba95, v42
	v_mul_f16_e32 v111, 0x3b7b, v46
	v_mul_f16_e32 v116, 0xba95, v50
	v_fmamk_f16 v131, v49, 0x3b7b, v67
	v_fmamk_f16 v143, v49, 0x394e, v79
	;; [unrolled: 1-line block ×3, first 2 shown]
	v_fmac_f16_e32 v91, 0xb3a8, v49
	v_fmac_f16_e32 v79, 0xb94e, v49
	;; [unrolled: 1-line block ×3, first 2 shown]
	v_fmamk_f16 v163, v21, 0x2fb7, v103
	v_fma_f16 v169, v16, 0xbbc4, -v110
	v_fmamk_f16 v170, v21, 0x3b15, v115
	v_mul_f16_e32 v48, 0xb770, v48
	v_add_f16_e32 v39, v40, v39
	v_add_f16_e32 v24, v11, v14
	v_fma_f16 v11, v21, 0x3b15, -v115
	v_add_f16_e32 v14, v17, v22
	v_fma_f16 v17, v13, 0x3b15, -v106
	v_add_f16_e32 v21, v6, v109
	v_fmac_f16_e32 v110, 0xbbc4, v16
	v_mul_f16_e32 v59, 0x2fb7, v9
	v_mul_f16_e32 v62, 0xbb7b, v47
	v_fmamk_f16 v122, v52, 0xb94e, v58
	v_fmamk_f16 v125, v19, 0x388b, v61
	v_fmac_f16_e32 v58, 0x394e, v52
	v_fma_f16 v61, v19, 0x388b, -v61
	v_add_f16_e32 v55, v55, v57
	v_add_f16_e32 v12, v33, v38
	v_mul_f16_e32 v68, 0xb9fd, v20
	v_mul_f16_e32 v80, 0x2fb7, v20
	;; [unrolled: 1-line block ×5, first 2 shown]
	v_fmamk_f16 v164, v20, 0xbbc4, v104
	v_fmamk_f16 v171, v20, 0x388b, v116
	v_fma_f16 v173, v15, 0xb5ac, -v111
	v_add_f16_e32 v119, v0, v119
	v_add_f16_e32 v131, v0, v131
	;; [unrolled: 1-line block ×9, first 2 shown]
	v_fma_f16 v32, v19, 0x3b15, -v48
	v_mul_f16_e32 v40, 0xba95, v47
	v_add_f16_e32 v38, v39, v38
	v_add_f16_e32 v0, v0, v11
	v_fma_f16 v11, v20, 0x388b, -v116
	v_add_f16_e32 v14, v14, v17
	v_fma_f16 v17, v9, 0x388b, -v107
	v_add_f16_e32 v20, v21, v110
	v_fmac_f16_e32 v111, 0xb5ac, v15
	v_sub_f16_e32 v41, v36, v35
	v_mul_f16_e32 v60, 0x3b15, v5
	v_fmamk_f16 v123, v42, 0xbbf1, v59
	v_fmamk_f16 v126, v16, 0xb5ac, v62
	v_fma_f16 v62, v16, 0xb5ac, -v62
	v_fmac_f16_e32 v59, 0x3bf1, v42
	v_add_f16_e32 v61, v6, v61
	v_add_f16_e32 v55, v55, v58
	;; [unrolled: 1-line block ×3, first 2 shown]
	v_mul_f16_e32 v69, 0x3b15, v18
	v_mul_f16_e32 v70, 0x2fb7, v13
	;; [unrolled: 1-line block ×11, first 2 shown]
	v_fma_f16 v174, v12, 0x3b15, -v112
	v_add_f16_e32 v31, v6, v32
	v_fma_f16 v32, v16, 0x388b, -v40
	v_mul_f16_e32 v39, 0xbbf1, v46
	v_add_f16_e32 v37, v38, v37
	v_add_f16_e32 v0, v0, v11
	v_fma_f16 v11, v18, 0x2fb7, -v117
	v_add_f16_e32 v17, v14, v17
	v_add_f16_e32 v14, v20, v111
	v_fmac_f16_e32 v112, 0x3b15, v12
	v_fmamk_f16 v137, v19, 0xb5ac, v73
	v_fmamk_f16 v149, v19, 0xb9fd, v85
	;; [unrolled: 1-line block ×3, first 2 shown]
	v_fma_f16 v97, v19, 0xbbc4, -v97
	v_fma_f16 v85, v19, 0xb9fd, -v85
	v_fma_f16 v73, v19, 0xb5ac, -v73
	v_fmac_f16_e32 v48, 0x3b15, v19
	v_fmamk_f16 v124, v41, 0xb770, v60
	v_fmac_f16_e32 v60, 0x3770, v41
	v_fmamk_f16 v177, v18, 0x2fb7, v117
	v_add_f16_e32 v56, v61, v62
	v_add_f16_e32 v61, v170, v171
	;; [unrolled: 1-line block ×4, first 2 shown]
	v_fmamk_f16 v132, v50, 0xb94e, v68
	v_fmamk_f16 v133, v51, 0xb770, v69
	v_fmamk_f16 v134, v52, 0x3bf1, v70
	v_fmamk_f16 v135, v42, 0xb3a8, v71
	v_fmamk_f16 v144, v50, 0xbbf1, v80
	v_fmamk_f16 v145, v51, 0x3a95, v81
	v_fmamk_f16 v146, v52, 0xb3a8, v82
	v_fmamk_f16 v147, v42, 0xb770, v83
	v_fmamk_f16 v49, v50, 0xb770, v92
	v_fmac_f16_e32 v92, 0x3770, v50
	v_fmac_f16_e32 v80, 0x3bf1, v50
	v_fmac_f16_e32 v68, 0x394e, v50
	v_fmamk_f16 v50, v51, 0x394e, v93
	v_fmac_f16_e32 v93, 0xb94e, v51
	v_fmac_f16_e32 v81, 0xba95, v51
	v_fmac_f16_e32 v69, 0x3770, v51
	v_fmamk_f16 v51, v52, 0xba95, v94
	;; [unrolled: 4-line block ×4, first 2 shown]
	v_fma_f16 v175, v10, 0x388b, -v113
	v_mul_f16_e32 v42, 0xb94e, v42
	v_add_f16_e32 v31, v31, v32
	v_fma_f16 v32, v15, 0x2fb7, -v39
	v_add_f16_e32 v36, v37, v36
	v_mul_f16_e32 v29, 0xbb7b, v45
	v_add_f16_e32 v0, v0, v11
	v_fma_f16 v11, v13, 0xb5ac, -v118
	v_add_f16_e32 v18, v14, v112
	v_fmac_f16_e32 v113, 0x388b, v10
	v_add_f16_e32 v125, v6, v125
	v_add_f16_e32 v137, v6, v137
	;; [unrolled: 1-line block ×9, first 2 shown]
	v_fmac_f16_e32 v40, 0x388b, v16
	v_fmamk_f16 v166, v13, 0x3b15, v106
	v_add_f16_e32 v55, v55, v60
	v_add_f16_e32 v60, v61, v177
	v_fmamk_f16 v61, v13, 0xb5ac, v118
	v_mad_u64_u32 v[13:14], null, s2, v7, 0
	v_mul_f16_e32 v64, 0x394e, v45
	v_mul_f16_e32 v65, 0x3bf1, v44
	;; [unrolled: 1-line block ×11, first 2 shown]
	v_fmamk_f16 v167, v9, 0x388b, v107
	v_fmamk_f16 v47, v9, 0xb9fd, v42
	v_add_f16_e32 v31, v31, v32
	v_add_f16_e32 v32, v35, v36
	v_fma_f16 v28, v12, 0xb5ac, -v29
	v_mul_f16_e32 v35, 0xb94e, v44
	v_add_f16_e32 v0, v0, v11
	v_fma_f16 v9, v9, 0xb9fd, -v42
	v_add_f16_e32 v11, v18, v113
	v_add_nc_u32_e32 v18, 0x5b, v7
	v_add_f16_e32 v6, v6, v40
	v_fmac_f16_e32 v39, 0x2fb7, v15
	v_fmamk_f16 v128, v12, 0xb9fd, v64
	v_fmamk_f16 v129, v10, 0x2fb7, v65
	;; [unrolled: 1-line block ×8, first 2 shown]
	v_fma_f16 v100, v12, 0x388b, -v100
	v_fma_f16 v101, v10, 0xb5ac, -v101
	;; [unrolled: 1-line block ×8, first 2 shown]
	v_add_f16_e32 v26, v31, v28
	v_fma_f16 v28, v10, 0xb9fd, -v35
	v_fmac_f16_e32 v29, 0xb5ac, v12
	v_add_f16_e32 v12, v0, v9
	v_fmac_f16_e32 v35, 0xb9fd, v10
	v_mad_u64_u32 v[9:10], null, s2, v18, 0
	v_mul_f16_e32 v63, 0xb3a8, v46
	v_mul_f16_e32 v75, 0x3770, v46
	;; [unrolled: 1-line block ×6, first 2 shown]
	v_add_f16_e32 v6, v6, v39
	v_mov_b32_e32 v0, v14
	v_mul_f16_e32 v72, 0x388b, v5
	v_mul_f16_e32 v84, 0xb5ac, v5
	;; [unrolled: 1-line block ×3, first 2 shown]
	v_fmamk_f16 v127, v15, 0xbbc4, v63
	v_fmamk_f16 v138, v16, 0xb9fd, v74
	;; [unrolled: 1-line block ×7, first 2 shown]
	v_fma_f16 v98, v16, 0x3b15, -v98
	v_fma_f16 v99, v15, 0xb9fd, -v99
	;; [unrolled: 1-line block ×6, first 2 shown]
	v_fmamk_f16 v172, v5, 0xb9fd, v108
	v_fma_f16 v63, v15, 0xbbc4, -v63
	v_fmamk_f16 v36, v5, 0xbbc4, v37
	v_fma_f16 v16, v5, 0xb9fd, -v108
	v_fma_f16 v15, v5, 0xbbc4, -v37
	v_add_f16_e32 v14, v6, v29
	v_mad_u64_u32 v[5:6], null, s3, v7, v[0:1]
	v_lshlrev_b64 v[1:2], 2, v[1:2]
	v_mul_f16_e32 v66, 0x3770, v43
	v_mul_f16_e32 v78, 0x3a95, v43
	;; [unrolled: 1-line block ×5, first 2 shown]
	v_add_f16_e32 v32, v34, v32
	v_mul_f16_e32 v31, 0xb3a8, v43
	v_mov_b32_e32 v0, v10
	v_add_co_u32 v6, vcc_lo, s10, v3
	v_add_nc_u32_e32 v20, 0xb6, v7
	v_fmamk_f16 v130, v8, 0x3b15, v66
	v_fmamk_f16 v142, v8, 0x388b, v78
	;; [unrolled: 1-line block ×4, first 2 shown]
	v_fma_f16 v102, v8, 0x2fb7, -v102
	v_fma_f16 v90, v8, 0xb5ac, -v90
	;; [unrolled: 1-line block ×5, first 2 shown]
	v_add_f16_e32 v32, v33, v32
	v_add_f16_e32 v26, v26, v28
	v_fma_f16 v28, v8, 0xbbc4, -v31
	v_fmac_f16_e32 v114, 0xb9fd, v8
	v_fmac_f16_e32 v31, 0xbbc4, v8
	v_add_co_ci_u32_e32 v8, vcc_lo, s11, v4, vcc_lo
	v_mad_u64_u32 v[3:4], null, s3, v18, v[0:1]
	v_add_f16_e32 v19, v14, v35
	v_mov_b32_e32 v14, v5
	v_mad_u64_u32 v[4:5], null, s2, v20, 0
	v_add_f16_e32 v27, v27, v32
	v_add_f16_e32 v53, v60, v61
	v_mov_b32_e32 v10, v3
	v_add_nc_u32_e32 v22, 0x111, v7
	v_add_co_u32 v18, vcc_lo, v6, v1
	v_add_f16_e32 v25, v25, v27
	v_lshlrev_b64 v[0:1], 2, v[13:14]
	v_add_f16_e32 v30, v53, v47
	v_add_co_ci_u32_e32 v21, vcc_lo, v8, v2, vcc_lo
	v_mov_b32_e32 v2, v5
	v_lshlrev_b64 v[5:6], 2, v[9:10]
	v_add_f16_e32 v16, v17, v16
	v_add_f16_e32 v17, v11, v114
	;; [unrolled: 1-line block ×3, first 2 shown]
	v_mad_u64_u32 v[11:12], null, s2, v22, 0
	v_add_f16_e32 v23, v23, v25
	v_add_f16_e32 v30, v30, v36
	;; [unrolled: 1-line block ×3, first 2 shown]
	v_add_co_u32 v0, vcc_lo, v18, v0
	v_mad_u64_u32 v[2:3], null, s3, v20, v[2:3]
	v_add_co_ci_u32_e32 v1, vcc_lo, v21, v1, vcc_lo
	v_add_co_u32 v8, vcc_lo, v18, v5
	v_pack_b32_f16 v10, v23, v24
	v_add_co_ci_u32_e32 v9, vcc_lo, v21, v6, vcc_lo
	v_pack_b32_f16 v6, v26, v30
	v_mov_b32_e32 v3, v12
	v_mov_b32_e32 v5, v2
	global_store_dword v[0:1], v10, off
	global_store_dword v[8:9], v6, off
	v_add_nc_u32_e32 v6, 0x16c, v7
	v_add_nc_u32_e32 v14, 0x1c7, v7
	v_add_f16_e32 v56, v56, v63
	v_mad_u64_u32 v[12:13], null, s3, v22, v[3:4]
	v_lshlrev_b64 v[0:1], 2, v[4:5]
	v_mad_u64_u32 v[2:3], null, s2, v6, 0
	v_mad_u64_u32 v[4:5], null, s2, v14, 0
	v_add_nc_u32_e32 v22, 0x222, v7
	v_add_f16_e32 v67, v67, v68
	v_add_f16_e32 v68, v73, v74
	;; [unrolled: 1-line block ×5, first 2 shown]
	v_lshlrev_b64 v[8:9], 2, v[11:12]
	v_mad_u64_u32 v[10:11], null, s2, v22, 0
	v_add_f16_e32 v67, v67, v69
	v_add_f16_e32 v69, v73, v165
	;; [unrolled: 1-line block ×11, first 2 shown]
	v_mad_u64_u32 v[12:13], null, s3, v6, v[3:4]
	v_add_f16_e32 v68, v68, v75
	v_add_f16_e32 v67, v67, v70
	;; [unrolled: 1-line block ×14, first 2 shown]
	v_mad_u64_u32 v[5:6], null, s3, v14, v[5:6]
	v_mov_b32_e32 v6, v11
	v_add_f16_e32 v49, v155, v49
	v_add_co_u32 v0, vcc_lo, v18, v0
	v_add_f16_e32 v68, v68, v76
	v_add_f16_e32 v69, v69, v167
	;; [unrolled: 1-line block ×3, first 2 shown]
	v_add_co_ci_u32_e32 v1, vcc_lo, v21, v1, vcc_lo
	v_pack_b32_f16 v20, v56, v55
	v_mov_b32_e32 v3, v12
	v_add_f16_e32 v57, v62, v122
	v_add_f16_e32 v62, v85, v128
	;; [unrolled: 1-line block ×7, first 2 shown]
	v_mad_u64_u32 v[11:12], null, s3, v22, v[6:7]
	v_add_nc_u32_e32 v6, 0x27d, v7
	v_add_f16_e32 v49, v49, v50
	v_add_f16_e32 v91, v91, v93
	;; [unrolled: 1-line block ×3, first 2 shown]
	v_fmamk_f16 v136, v41, 0xba95, v72
	v_fmac_f16_e32 v72, 0x3a95, v41
	v_add_f16_e32 v67, v67, v71
	v_add_f16_e32 v68, v68, v77
	;; [unrolled: 1-line block ×4, first 2 shown]
	global_store_dword v[0:1], v20, off
	v_lshlrev_b64 v[0:1], 2, v[2:3]
	v_fmamk_f16 v148, v41, 0x3b7b, v84
	v_fmac_f16_e32 v84, 0xbb7b, v41
	v_add_f16_e32 v58, v62, v129
	v_add_f16_e32 v62, v63, v135
	;; [unrolled: 1-line block ×6, first 2 shown]
	v_lshlrev_b64 v[2:3], 2, v[4:5]
	v_mad_u64_u32 v[4:5], null, s2, v6, 0
	v_add_f16_e32 v49, v49, v51
	v_add_f16_e32 v51, v91, v94
	;; [unrolled: 1-line block ×3, first 2 shown]
	v_add_co_u32 v8, vcc_lo, v18, v8
	v_add_f16_e32 v67, v67, v72
	v_add_f16_e32 v68, v68, v78
	v_add_co_ci_u32_e32 v9, vcc_lo, v21, v9, vcc_lo
	v_pack_b32_f16 v13, v70, v69
	v_add_f16_e32 v65, v74, v84
	v_add_f16_e32 v71, v75, v90
	v_add_co_u32 v0, vcc_lo, v18, v0
	v_fmamk_f16 v156, v41, 0xbbf1, v96
	v_fmac_f16_e32 v96, 0x3bf1, v41
	v_add_f16_e32 v49, v49, v52
	v_add_f16_e32 v51, v51, v95
	;; [unrolled: 1-line block ×3, first 2 shown]
	v_add_co_ci_u32_e32 v1, vcc_lo, v21, v1, vcc_lo
	v_add_co_u32 v2, vcc_lo, v18, v2
	global_store_dword v[8:9], v13, off
	v_pack_b32_f16 v12, v68, v67
	v_lshlrev_b64 v[8:9], 2, v[10:11]
	v_mad_u64_u32 v[5:6], null, s3, v6, v[5:6]
	v_add_co_ci_u32_e32 v3, vcc_lo, v21, v3, vcc_lo
	v_pack_b32_f16 v6, v71, v65
	v_add_f16_e32 v51, v51, v96
	v_add_f16_e32 v52, v52, v102
	;; [unrolled: 1-line block ×3, first 2 shown]
	global_store_dword v[0:1], v12, off
	global_store_dword v[2:3], v6, off
	v_add_nc_u32_e32 v6, 0x2d8, v7
	v_add_nc_u32_e32 v12, 0x333, v7
	v_add_co_u32 v8, vcc_lo, v18, v8
	v_add_co_ci_u32_e32 v9, vcc_lo, v21, v9, vcc_lo
	v_pack_b32_f16 v10, v52, v51
	v_add_nc_u32_e32 v13, 0x38e, v7
	v_add_f16_e32 v50, v137, v159
	v_lshlrev_b64 v[0:1], 2, v[4:5]
	v_mad_u64_u32 v[2:3], null, s2, v6, 0
	v_mad_u64_u32 v[4:5], null, s2, v12, 0
	global_store_dword v[8:9], v10, off
	v_mad_u64_u32 v[8:9], null, s2, v13, 0
	v_add_f16_e32 v50, v50, v160
	v_add_nc_u32_e32 v20, 0x3e9, v7
	v_add_f16_e32 v49, v49, v156
	v_mad_u64_u32 v[10:11], null, s3, v6, v[3:4]
	v_add_f16_e32 v50, v50, v161
	v_mad_u64_u32 v[5:6], null, s3, v12, v[5:6]
	v_mov_b32_e32 v6, v9
	v_mad_u64_u32 v[11:12], null, s2, v20, 0
	v_add_f16_e32 v50, v50, v162
	v_mov_b32_e32 v3, v10
	v_mad_u64_u32 v[9:10], null, s3, v13, v[6:7]
	v_add_co_u32 v0, vcc_lo, v18, v0
	v_add_nc_u32_e32 v10, 0x444, v7
	v_add_co_ci_u32_e32 v1, vcc_lo, v21, v1, vcc_lo
	v_pack_b32_f16 v14, v50, v49
	v_add_f16_e32 v132, v149, v150
	v_mad_u64_u32 v[6:7], null, s2, v10, 0
	v_lshlrev_b64 v[4:5], 2, v[4:5]
	global_store_dword v[0:1], v14, off
	v_lshlrev_b64 v[0:1], 2, v[2:3]
	v_mov_b32_e32 v2, v12
	v_add_f16_e32 v119, v132, v151
	v_lshlrev_b64 v[8:9], 2, v[8:9]
	v_add_f16_e32 v57, v57, v123
	v_add_f16_e32 v59, v62, v136
	v_mad_u64_u32 v[2:3], null, s3, v20, v[2:3]
	v_mov_b32_e32 v3, v7
	v_add_f16_e32 v81, v119, v152
	v_add_co_u32 v0, vcc_lo, v18, v0
	v_add_co_ci_u32_e32 v1, vcc_lo, v21, v1, vcc_lo
	v_mad_u64_u32 v[13:14], null, s3, v10, v[3:4]
	v_mov_b32_e32 v12, v2
	v_add_f16_e32 v73, v81, v153
	v_add_co_u32 v2, vcc_lo, v18, v4
	v_add_co_ci_u32_e32 v3, vcc_lo, v21, v5, vcc_lo
	v_mov_b32_e32 v7, v13
	v_lshlrev_b64 v[4:5], 2, v[11:12]
	v_add_f16_e32 v62, v63, v142
	v_add_f16_e32 v63, v64, v148
	;; [unrolled: 1-line block ×3, first 2 shown]
	v_add_co_u32 v8, vcc_lo, v18, v8
	v_lshlrev_b64 v[6:7], 2, v[6:7]
	v_add_f16_e32 v57, v57, v124
	v_add_f16_e32 v58, v58, v130
	v_add_co_ci_u32_e32 v9, vcc_lo, v21, v9, vcc_lo
	v_add_f16_e32 v19, v19, v31
	v_add_co_u32 v4, vcc_lo, v18, v4
	v_pack_b32_f16 v20, v64, v63
	v_pack_b32_f16 v10, v62, v59
	v_add_co_ci_u32_e32 v5, vcc_lo, v21, v5, vcc_lo
	v_pack_b32_f16 v11, v17, v16
	v_add_co_u32 v6, vcc_lo, v18, v6
	v_pack_b32_f16 v12, v58, v57
	v_add_co_ci_u32_e32 v7, vcc_lo, v21, v7, vcc_lo
	v_pack_b32_f16 v13, v19, v15
	global_store_dword v[0:1], v20, off
	global_store_dword v[2:3], v10, off
	global_store_dword v[8:9], v11, off
	global_store_dword v[4:5], v12, off
	global_store_dword v[6:7], v13, off
.LBB0_21:
	s_endpgm
	.section	.rodata,"a",@progbits
	.p2align	6, 0x0
	.amdhsa_kernel fft_rtc_fwd_len1183_factors_7_13_13_wgs_182_tpt_91_halfLds_half_op_CI_CI_sbrr_dirReg
		.amdhsa_group_segment_fixed_size 0
		.amdhsa_private_segment_fixed_size 0
		.amdhsa_kernarg_size 104
		.amdhsa_user_sgpr_count 6
		.amdhsa_user_sgpr_private_segment_buffer 1
		.amdhsa_user_sgpr_dispatch_ptr 0
		.amdhsa_user_sgpr_queue_ptr 0
		.amdhsa_user_sgpr_kernarg_segment_ptr 1
		.amdhsa_user_sgpr_dispatch_id 0
		.amdhsa_user_sgpr_flat_scratch_init 0
		.amdhsa_user_sgpr_private_segment_size 0
		.amdhsa_wavefront_size32 1
		.amdhsa_uses_dynamic_stack 0
		.amdhsa_system_sgpr_private_segment_wavefront_offset 0
		.amdhsa_system_sgpr_workgroup_id_x 1
		.amdhsa_system_sgpr_workgroup_id_y 0
		.amdhsa_system_sgpr_workgroup_id_z 0
		.amdhsa_system_sgpr_workgroup_info 0
		.amdhsa_system_vgpr_workitem_id 0
		.amdhsa_next_free_vgpr 178
		.amdhsa_next_free_sgpr 31
		.amdhsa_reserve_vcc 1
		.amdhsa_reserve_flat_scratch 0
		.amdhsa_float_round_mode_32 0
		.amdhsa_float_round_mode_16_64 0
		.amdhsa_float_denorm_mode_32 3
		.amdhsa_float_denorm_mode_16_64 3
		.amdhsa_dx10_clamp 1
		.amdhsa_ieee_mode 1
		.amdhsa_fp16_overflow 0
		.amdhsa_workgroup_processor_mode 1
		.amdhsa_memory_ordered 1
		.amdhsa_forward_progress 0
		.amdhsa_shared_vgpr_count 0
		.amdhsa_exception_fp_ieee_invalid_op 0
		.amdhsa_exception_fp_denorm_src 0
		.amdhsa_exception_fp_ieee_div_zero 0
		.amdhsa_exception_fp_ieee_overflow 0
		.amdhsa_exception_fp_ieee_underflow 0
		.amdhsa_exception_fp_ieee_inexact 0
		.amdhsa_exception_int_div_zero 0
	.end_amdhsa_kernel
	.text
.Lfunc_end0:
	.size	fft_rtc_fwd_len1183_factors_7_13_13_wgs_182_tpt_91_halfLds_half_op_CI_CI_sbrr_dirReg, .Lfunc_end0-fft_rtc_fwd_len1183_factors_7_13_13_wgs_182_tpt_91_halfLds_half_op_CI_CI_sbrr_dirReg
                                        ; -- End function
	.section	.AMDGPU.csdata,"",@progbits
; Kernel info:
; codeLenInByte = 11668
; NumSgprs: 33
; NumVgprs: 178
; ScratchSize: 0
; MemoryBound: 0
; FloatMode: 240
; IeeeMode: 1
; LDSByteSize: 0 bytes/workgroup (compile time only)
; SGPRBlocks: 4
; VGPRBlocks: 22
; NumSGPRsForWavesPerEU: 33
; NumVGPRsForWavesPerEU: 178
; Occupancy: 5
; WaveLimiterHint : 1
; COMPUTE_PGM_RSRC2:SCRATCH_EN: 0
; COMPUTE_PGM_RSRC2:USER_SGPR: 6
; COMPUTE_PGM_RSRC2:TRAP_HANDLER: 0
; COMPUTE_PGM_RSRC2:TGID_X_EN: 1
; COMPUTE_PGM_RSRC2:TGID_Y_EN: 0
; COMPUTE_PGM_RSRC2:TGID_Z_EN: 0
; COMPUTE_PGM_RSRC2:TIDIG_COMP_CNT: 0
	.text
	.p2alignl 6, 3214868480
	.fill 48, 4, 3214868480
	.type	__hip_cuid_6a14ad6e5978669,@object ; @__hip_cuid_6a14ad6e5978669
	.section	.bss,"aw",@nobits
	.globl	__hip_cuid_6a14ad6e5978669
__hip_cuid_6a14ad6e5978669:
	.byte	0                               ; 0x0
	.size	__hip_cuid_6a14ad6e5978669, 1

	.ident	"AMD clang version 19.0.0git (https://github.com/RadeonOpenCompute/llvm-project roc-6.4.0 25133 c7fe45cf4b819c5991fe208aaa96edf142730f1d)"
	.section	".note.GNU-stack","",@progbits
	.addrsig
	.addrsig_sym __hip_cuid_6a14ad6e5978669
	.amdgpu_metadata
---
amdhsa.kernels:
  - .args:
      - .actual_access:  read_only
        .address_space:  global
        .offset:         0
        .size:           8
        .value_kind:     global_buffer
      - .offset:         8
        .size:           8
        .value_kind:     by_value
      - .actual_access:  read_only
        .address_space:  global
        .offset:         16
        .size:           8
        .value_kind:     global_buffer
      - .actual_access:  read_only
        .address_space:  global
        .offset:         24
        .size:           8
        .value_kind:     global_buffer
      - .actual_access:  read_only
        .address_space:  global
        .offset:         32
        .size:           8
        .value_kind:     global_buffer
      - .offset:         40
        .size:           8
        .value_kind:     by_value
      - .actual_access:  read_only
        .address_space:  global
        .offset:         48
        .size:           8
        .value_kind:     global_buffer
      - .actual_access:  read_only
        .address_space:  global
        .offset:         56
        .size:           8
        .value_kind:     global_buffer
      - .offset:         64
        .size:           4
        .value_kind:     by_value
      - .actual_access:  read_only
        .address_space:  global
        .offset:         72
        .size:           8
        .value_kind:     global_buffer
      - .actual_access:  read_only
        .address_space:  global
        .offset:         80
        .size:           8
        .value_kind:     global_buffer
      - .actual_access:  read_only
        .address_space:  global
        .offset:         88
        .size:           8
        .value_kind:     global_buffer
      - .actual_access:  write_only
        .address_space:  global
        .offset:         96
        .size:           8
        .value_kind:     global_buffer
    .group_segment_fixed_size: 0
    .kernarg_segment_align: 8
    .kernarg_segment_size: 104
    .language:       OpenCL C
    .language_version:
      - 2
      - 0
    .max_flat_workgroup_size: 182
    .name:           fft_rtc_fwd_len1183_factors_7_13_13_wgs_182_tpt_91_halfLds_half_op_CI_CI_sbrr_dirReg
    .private_segment_fixed_size: 0
    .sgpr_count:     33
    .sgpr_spill_count: 0
    .symbol:         fft_rtc_fwd_len1183_factors_7_13_13_wgs_182_tpt_91_halfLds_half_op_CI_CI_sbrr_dirReg.kd
    .uniform_work_group_size: 1
    .uses_dynamic_stack: false
    .vgpr_count:     178
    .vgpr_spill_count: 0
    .wavefront_size: 32
    .workgroup_processor_mode: 1
amdhsa.target:   amdgcn-amd-amdhsa--gfx1030
amdhsa.version:
  - 1
  - 2
...

	.end_amdgpu_metadata
